;; amdgpu-corpus repo=ROCm/rocFFT kind=compiled arch=gfx1030 opt=O3
	.text
	.amdgcn_target "amdgcn-amd-amdhsa--gfx1030"
	.amdhsa_code_object_version 6
	.protected	bluestein_single_fwd_len294_dim1_dp_op_CI_CI ; -- Begin function bluestein_single_fwd_len294_dim1_dp_op_CI_CI
	.globl	bluestein_single_fwd_len294_dim1_dp_op_CI_CI
	.p2align	8
	.type	bluestein_single_fwd_len294_dim1_dp_op_CI_CI,@function
bluestein_single_fwd_len294_dim1_dp_op_CI_CI: ; @bluestein_single_fwd_len294_dim1_dp_op_CI_CI
; %bb.0:
	s_load_dwordx4 s[12:15], s[4:5], 0x28
	v_mul_u32_u24_e32 v1, 0x619, v0
	s_mov_b32 s0, exec_lo
	v_lshrrev_b32_e32 v1, 16, v1
	v_mad_u64_u32 v[124:125], null, s6, 3, v[1:2]
	v_mov_b32_e32 v125, 0
	s_waitcnt lgkmcnt(0)
	v_cmpx_gt_u64_e64 s[12:13], v[124:125]
	s_cbranch_execz .LBB0_15
; %bb.1:
	s_clause 0x1
	s_load_dwordx4 s[8:11], s[4:5], 0x18
	s_load_dwordx2 s[6:7], s[4:5], 0x0
	v_mul_lo_u16 v1, v1, 42
	v_mul_hi_u32 v76, 0xaaaaaaab, v124
	v_sub_nc_u16 v74, v0, v1
	v_lshrrev_b32_e32 v76, 1, v76
	v_and_b32_e32 v127, 0xffff, v74
	v_lshl_add_u32 v76, v76, 1, v76
	v_lshlrev_b32_e32 v75, 4, v127
	s_waitcnt lgkmcnt(0)
	s_load_dwordx4 s[0:3], s[8:9], 0x0
	v_sub_nc_u32_e32 v76, v124, v76
	s_waitcnt lgkmcnt(0)
	v_mad_u64_u32 v[12:13], null, s2, v124, 0
	v_mad_u64_u32 v[14:15], null, s0, v127, 0
	v_add_co_u32 v120, s2, s6, v75
	v_add_co_ci_u32_e64 v121, null, s7, 0, s2
	v_mov_b32_e32 v0, v13
	s_mul_i32 s2, s0, 49
	v_mov_b32_e32 v1, v15
	v_mad_u64_u32 v[2:3], null, s3, v124, v[0:1]
	s_mul_i32 s3, s1, 49
	v_mov_b32_e32 v13, v2
	v_mad_u64_u32 v[15:16], null, s1, v127, v[1:2]
	s_clause 0x2
	global_load_dwordx4 v[0:3], v75, s[6:7]
	global_load_dwordx4 v[4:7], v75, s[6:7] offset:784
	global_load_dwordx4 v[8:11], v75, s[6:7] offset:1568
	s_mul_hi_u32 s6, s0, 49
	v_lshlrev_b64 v[12:13], 4, v[12:13]
	s_add_i32 s3, s6, s3
	s_lshl_b64 s[6:7], s[2:3], 4
	v_lshlrev_b64 v[14:15], 4, v[14:15]
	v_add_co_u32 v12, vcc_lo, s14, v12
	v_add_co_ci_u32_e32 v13, vcc_lo, s15, v13, vcc_lo
	v_add_co_u32 v12, vcc_lo, v12, v14
	v_add_co_ci_u32_e32 v13, vcc_lo, v13, v15, vcc_lo
	;; [unrolled: 2-line block ×5, first 2 shown]
	global_load_dwordx4 v[26:29], v[12:13], off
	v_add_co_u32 v12, vcc_lo, v16, s6
	v_add_co_ci_u32_e32 v13, vcc_lo, s7, v17, vcc_lo
	s_clause 0x1
	global_load_dwordx4 v[30:33], v[14:15], off
	global_load_dwordx4 v[34:37], v[16:17], off
	v_add_co_u32 v20, vcc_lo, v12, s6
	v_add_co_ci_u32_e32 v21, vcc_lo, s7, v13, vcc_lo
	global_load_dwordx4 v[38:41], v[12:13], off
	v_add_co_u32 v24, vcc_lo, v20, s6
	v_add_co_ci_u32_e32 v25, vcc_lo, s7, v21, vcc_lo
	s_clause 0x1
	global_load_dwordx4 v[16:19], v[122:123], off offset:304
	global_load_dwordx4 v[12:15], v[122:123], off offset:1088
	global_load_dwordx4 v[42:45], v[20:21], off
	global_load_dwordx4 v[20:23], v[122:123], off offset:1872
	global_load_dwordx4 v[46:49], v[24:25], off
	s_load_dwordx2 s[2:3], s[4:5], 0x38
	s_load_dwordx4 s[8:11], s[10:11], 0x0
	v_cmp_gt_u16_e32 vcc_lo, 7, v74
	s_waitcnt vmcnt(8)
	v_mul_f64 v[50:51], v[28:29], v[2:3]
	v_mul_f64 v[52:53], v[26:27], v[2:3]
	s_waitcnt vmcnt(7)
	v_mul_f64 v[54:55], v[32:33], v[6:7]
	s_waitcnt vmcnt(6)
	v_mul_f64 v[58:59], v[36:37], v[10:11]
	v_mul_f64 v[60:61], v[34:35], v[10:11]
	;; [unrolled: 1-line block ×3, first 2 shown]
	s_waitcnt vmcnt(4)
	v_mul_f64 v[62:63], v[40:41], v[18:19]
	v_mul_f64 v[64:65], v[38:39], v[18:19]
	s_waitcnt vmcnt(2)
	v_mul_f64 v[66:67], v[44:45], v[14:15]
	v_mul_f64 v[68:69], v[42:43], v[14:15]
	;; [unrolled: 3-line block ×3, first 2 shown]
	v_fma_f64 v[26:27], v[26:27], v[0:1], v[50:51]
	v_fma_f64 v[28:29], v[28:29], v[0:1], -v[52:53]
	v_mul_u32_u24_e32 v50, 0x126, v76
	v_fma_f64 v[30:31], v[30:31], v[4:5], v[54:55]
	v_fma_f64 v[34:35], v[34:35], v[8:9], v[58:59]
	v_fma_f64 v[36:37], v[36:37], v[8:9], -v[60:61]
	v_fma_f64 v[32:33], v[32:33], v[4:5], -v[56:57]
	v_lshlrev_b32_e32 v129, 4, v50
	v_fma_f64 v[38:39], v[38:39], v[16:17], v[62:63]
	v_fma_f64 v[40:41], v[40:41], v[16:17], -v[64:65]
	v_fma_f64 v[42:43], v[42:43], v[12:13], v[66:67]
	v_fma_f64 v[44:45], v[44:45], v[12:13], -v[68:69]
	;; [unrolled: 2-line block ×3, first 2 shown]
	v_add_nc_u32_e32 v128, v75, v129
	ds_write_b128 v128, v[26:29]
	ds_write_b128 v128, v[30:33] offset:784
	ds_write_b128 v128, v[34:37] offset:1568
	;; [unrolled: 1-line block ×5, first 2 shown]
	s_and_saveexec_b32 s12, vcc_lo
	s_cbranch_execz .LBB0_3
; %bb.2:
	v_mad_u64_u32 v[36:37], null, 0xfffff350, s0, v[24:25]
	s_mulk_i32 s1, 0xf350
	s_clause 0x1
	global_load_dwordx4 v[24:27], v[120:121], off offset:672
	global_load_dwordx4 v[28:31], v[120:121], off offset:1456
	s_sub_i32 s0, s1, s0
	v_add_nc_u32_e32 v37, s0, v37
	v_add_co_u32 v40, s0, v36, s6
	v_add_co_ci_u32_e64 v41, s0, s7, v37, s0
	v_add_co_u32 v44, s0, v40, s6
	v_add_co_ci_u32_e64 v45, s0, s7, v41, s0
	;; [unrolled: 2-line block ×3, first 2 shown]
	v_add_co_u32 v56, s0, v52, s6
	global_load_dwordx4 v[32:35], v[122:123], off offset:192
	global_load_dwordx4 v[36:39], v[36:37], off
	global_load_dwordx4 v[40:43], v[40:41], off
	;; [unrolled: 1-line block ×4, first 2 shown]
	v_add_co_ci_u32_e64 v57, s0, s7, v53, s0
	v_add_co_u32 v64, s0, 0x1000, v120
	v_add_co_ci_u32_e64 v65, s0, 0, v121, s0
	v_add_co_u32 v68, s0, v56, s6
	v_add_co_ci_u32_e64 v69, s0, s7, v57, s0
	global_load_dwordx4 v[52:55], v[122:123], off offset:976
	global_load_dwordx4 v[56:59], v[56:57], off
	s_clause 0x1
	global_load_dwordx4 v[60:63], v[122:123], off offset:1760
	global_load_dwordx4 v[64:67], v[64:65], off offset:496
	global_load_dwordx4 v[68:71], v[68:69], off
	s_waitcnt vmcnt(8)
	v_mul_f64 v[72:73], v[38:39], v[26:27]
	v_mul_f64 v[26:27], v[36:37], v[26:27]
	s_waitcnt vmcnt(7)
	v_mul_f64 v[74:75], v[42:43], v[30:31]
	v_mul_f64 v[30:31], v[40:41], v[30:31]
	;; [unrolled: 3-line block ×6, first 2 shown]
	v_fma_f64 v[34:35], v[36:37], v[24:25], v[72:73]
	v_fma_f64 v[36:37], v[38:39], v[24:25], -v[26:27]
	v_fma_f64 v[24:25], v[40:41], v[28:29], v[74:75]
	v_fma_f64 v[26:27], v[42:43], v[28:29], -v[30:31]
	;; [unrolled: 2-line block ×6, first 2 shown]
	ds_write_b128 v128, v[34:37] offset:672
	ds_write_b128 v128, v[24:27] offset:1456
	;; [unrolled: 1-line block ×6, first 2 shown]
.LBB0_3:
	s_or_b32 exec_lo, exec_lo, s12
	s_waitcnt lgkmcnt(0)
	s_barrier
	buffer_gl0_inv
	ds_read_b128 v[36:39], v128
	ds_read_b128 v[40:43], v128 offset:784
	ds_read_b128 v[48:51], v128 offset:1568
	;; [unrolled: 1-line block ×5, first 2 shown]
	s_load_dwordx2 s[0:1], s[4:5], 0x8
                                        ; implicit-def: $vgpr32_vgpr33
                                        ; implicit-def: $vgpr52_vgpr53
                                        ; implicit-def: $vgpr56_vgpr57
                                        ; implicit-def: $vgpr68_vgpr69
                                        ; implicit-def: $vgpr60_vgpr61
                                        ; implicit-def: $vgpr64_vgpr65
	s_and_saveexec_b32 s4, vcc_lo
	s_cbranch_execz .LBB0_5
; %bb.4:
	ds_read_b128 v[32:35], v128 offset:672
	ds_read_b128 v[52:55], v128 offset:1456
	;; [unrolled: 1-line block ×6, first 2 shown]
.LBB0_5:
	s_or_b32 exec_lo, exec_lo, s4
	s_waitcnt lgkmcnt(0)
	v_add_f64 v[72:73], v[46:47], v[26:27]
	v_add_f64 v[74:75], v[44:45], v[24:25]
	;; [unrolled: 1-line block ×4, first 2 shown]
	v_add_f64 v[80:81], v[46:47], -v[26:27]
	v_add_f64 v[82:83], v[44:45], -v[24:25]
	;; [unrolled: 1-line block ×4, first 2 shown]
	s_mov_b32 s4, 0xe8584caa
	s_mov_b32 s5, 0x3febb67a
	s_mov_b32 s7, 0xbfebb67a
	s_mov_b32 s6, s4
	v_add_f64 v[90:91], v[48:49], v[28:29]
	v_add_f64 v[92:93], v[50:51], v[30:31]
	;; [unrolled: 1-line block ×3, first 2 shown]
	v_add_f64 v[94:95], v[50:51], -v[30:31]
	v_add_f64 v[50:51], v[38:39], v[50:51]
	v_add_f64 v[48:49], v[48:49], -v[28:29]
	s_barrier
	buffer_gl0_inv
	v_fma_f64 v[72:73], v[72:73], -0.5, v[42:43]
	v_fma_f64 v[74:75], v[74:75], -0.5, v[40:41]
	v_fma_f64 v[76:77], v[76:77], -0.5, v[54:55]
	v_fma_f64 v[78:79], v[78:79], -0.5, v[52:53]
	v_add_f64 v[40:41], v[40:41], v[44:45]
	v_add_f64 v[42:43], v[42:43], v[46:47]
	;; [unrolled: 1-line block ×6, first 2 shown]
	v_fma_f64 v[36:37], v[90:91], -0.5, v[36:37]
	v_fma_f64 v[38:39], v[92:93], -0.5, v[38:39]
	v_add_f64 v[88:89], v[88:89], v[28:29]
	v_add_f64 v[50:51], v[50:51], v[30:31]
	v_fma_f64 v[96:97], v[82:83], s[6:7], v[72:73]
	v_fma_f64 v[98:99], v[80:81], s[6:7], v[74:75]
	;; [unrolled: 1-line block ×4, first 2 shown]
	v_add_f64 v[80:81], v[56:57], v[60:61]
	v_add_f64 v[82:83], v[58:59], v[62:63]
	v_fma_f64 v[100:101], v[86:87], s[6:7], v[76:77]
	v_fma_f64 v[102:103], v[84:85], s[6:7], v[78:79]
	;; [unrolled: 1-line block ×4, first 2 shown]
	v_add_f64 v[58:59], v[58:59], -v[62:63]
	v_add_f64 v[56:57], v[56:57], -v[60:61]
	v_add_f64 v[24:25], v[40:41], v[24:25]
	v_add_f64 v[26:27], v[42:43], v[26:27]
	;; [unrolled: 1-line block ×4, first 2 shown]
	v_fma_f64 v[40:41], v[94:95], s[4:5], v[36:37]
	v_fma_f64 v[42:43], v[94:95], s[6:7], v[36:37]
	;; [unrolled: 1-line block ×3, first 2 shown]
	v_mul_f64 v[68:69], v[96:97], s[4:5]
	v_mul_f64 v[70:71], v[98:99], -0.5
	v_mul_f64 v[84:85], v[74:75], s[6:7]
	v_mul_f64 v[86:87], v[72:73], -0.5
	v_fma_f64 v[80:81], v[80:81], -0.5, v[32:33]
	v_fma_f64 v[82:83], v[82:83], -0.5, v[34:35]
	v_mul_f64 v[90:91], v[100:101], s[4:5]
	v_mul_f64 v[92:93], v[102:103], -0.5
	v_mul_f64 v[104:105], v[78:79], s[6:7]
	v_mul_f64 v[106:107], v[76:77], -0.5
	v_add_f64 v[32:33], v[46:47], v[62:63]
	v_add_f64 v[34:35], v[54:55], v[66:67]
	v_fma_f64 v[46:47], v[48:49], s[4:5], v[38:39]
	v_add_f64 v[52:53], v[88:89], v[24:25]
	v_add_f64 v[54:55], v[50:51], v[26:27]
	v_add_f64 v[36:37], v[28:29], -v[30:31]
	v_fma_f64 v[48:49], v[74:75], 0.5, v[68:69]
	v_fma_f64 v[71:72], v[72:73], s[4:5], v[70:71]
	v_fma_f64 v[84:85], v[96:97], 0.5, v[84:85]
	v_fma_f64 v[86:87], v[98:99], s[6:7], v[86:87]
	v_fma_f64 v[94:95], v[58:59], s[4:5], v[80:81]
	;; [unrolled: 1-line block ×5, first 2 shown]
	v_fma_f64 v[78:79], v[78:79], 0.5, v[90:91]
	v_fma_f64 v[90:91], v[76:77], s[4:5], v[92:93]
	v_fma_f64 v[92:93], v[100:101], 0.5, v[104:105]
	v_fma_f64 v[98:99], v[102:103], s[6:7], v[106:107]
	v_add_f64 v[56:57], v[88:89], -v[24:25]
	v_add_f64 v[58:59], v[50:51], -v[26:27]
	;; [unrolled: 1-line block ×3, first 2 shown]
	v_mul_u32_u24_e32 v68, 6, v127
	v_add_co_u32 v77, null, v127, 42
	v_lshl_add_u32 v131, v68, 4, v129
	v_mul_u32_u24_e32 v130, 6, v77
	v_add_f64 v[60:61], v[40:41], v[48:49]
	v_add_f64 v[64:65], v[42:43], v[71:72]
	;; [unrolled: 1-line block ×4, first 2 shown]
	v_add_f64 v[69:70], v[40:41], -v[48:49]
	v_add_f64 v[73:74], v[42:43], -v[71:72]
	;; [unrolled: 1-line block ×4, first 2 shown]
	v_add_f64 v[24:25], v[94:95], v[78:79]
	v_add_f64 v[40:41], v[80:81], v[90:91]
	;; [unrolled: 1-line block ×4, first 2 shown]
	v_add_f64 v[44:45], v[94:95], -v[78:79]
	v_add_f64 v[48:49], v[80:81], -v[90:91]
	;; [unrolled: 1-line block ×4, first 2 shown]
	ds_write_b128 v131, v[52:55]
	ds_write_b128 v131, v[56:59] offset:48
	ds_write_b128 v131, v[60:63] offset:16
	;; [unrolled: 1-line block ×5, first 2 shown]
	s_and_saveexec_b32 s4, vcc_lo
	s_cbranch_execz .LBB0_7
; %bb.6:
	v_add_f64 v[32:33], v[32:33], v[34:35]
	v_add_f64 v[30:31], v[28:29], v[30:31]
	v_lshl_add_u32 v28, v130, 4, v129
	ds_write_b128 v28, v[24:27] offset:16
	ds_write_b128 v28, v[40:43] offset:32
	;; [unrolled: 1-line block ×4, first 2 shown]
	ds_write_b128 v28, v[30:33]
	ds_write_b128 v28, v[48:51] offset:80
.LBB0_7:
	s_or_b32 exec_lo, exec_lo, s4
	v_and_b32_e32 v28, 0xff, v127
	v_mov_b32_e32 v29, 6
	s_waitcnt lgkmcnt(0)
	s_barrier
	buffer_gl0_inv
	v_mul_lo_u16 v28, 0xab, v28
	s_mov_b32 s6, 0x37e14327
	s_mov_b32 s16, 0xe976ee23
	;; [unrolled: 1-line block ×4, first 2 shown]
	v_lshrrev_b16 v119, 10, v28
	s_mov_b32 s12, 0x429ad128
	s_mov_b32 s4, 0x36b3c0b5
	;; [unrolled: 1-line block ×4, first 2 shown]
	v_mul_lo_u16 v28, v119, 6
	s_mov_b32 s14, 0xaaaaaaaa
	s_mov_b32 s22, 0xb247c609
	;; [unrolled: 1-line block ×4, first 2 shown]
	v_sub_nc_u16 v132, v127, v28
	s_mov_b32 s23, 0x3fd5d0dc
	s_mov_b32 s19, 0x3fe77f67
	;; [unrolled: 1-line block ×4, first 2 shown]
	v_mul_u32_u24_sdwa v28, v132, v29 dst_sel:DWORD dst_unused:UNUSED_PAD src0_sel:BYTE_0 src1_sel:DWORD
	s_mov_b32 s20, s18
	s_mov_b32 s24, s22
	;; [unrolled: 1-line block ×4, first 2 shown]
	v_lshlrev_b32_e32 v56, 4, v28
	s_clause 0x5
	global_load_dwordx4 v[32:35], v56, s[0:1]
	global_load_dwordx4 v[28:31], v56, s[0:1] offset:16
	global_load_dwordx4 v[52:55], v56, s[0:1] offset:80
	;; [unrolled: 1-line block ×5, first 2 shown]
	ds_read_b128 v[69:72], v128 offset:672
	ds_read_b128 v[73:76], v128 offset:1344
	;; [unrolled: 1-line block ×6, first 2 shown]
	ds_read_b128 v[93:96], v128
	s_waitcnt vmcnt(0) lgkmcnt(0)
	s_barrier
	buffer_gl0_inv
	v_mul_f64 v[97:98], v[71:72], v[34:35]
	v_mul_f64 v[99:100], v[69:70], v[34:35]
	;; [unrolled: 1-line block ×12, first 2 shown]
	v_fma_f64 v[69:70], v[69:70], v[32:33], -v[97:98]
	v_fma_f64 v[71:72], v[71:72], v[32:33], v[99:100]
	v_fma_f64 v[73:74], v[73:74], v[28:29], -v[101:102]
	v_fma_f64 v[75:76], v[75:76], v[28:29], v[103:104]
	;; [unrolled: 2-line block ×6, first 2 shown]
	v_add_f64 v[97:98], v[69:70], v[77:78]
	v_add_f64 v[99:100], v[71:72], v[79:80]
	;; [unrolled: 1-line block ×4, first 2 shown]
	v_add_f64 v[73:74], v[73:74], -v[81:82]
	v_add_f64 v[75:76], v[75:76], -v[83:84]
	v_add_f64 v[81:82], v[85:86], v[89:90]
	v_add_f64 v[83:84], v[87:88], v[91:92]
	v_add_f64 v[85:86], v[89:90], -v[85:86]
	v_add_f64 v[87:88], v[91:92], -v[87:88]
	v_add_f64 v[77:78], v[69:70], -v[77:78]
	v_add_f64 v[79:80], v[71:72], -v[79:80]
	v_add_f64 v[69:70], v[101:102], v[97:98]
	v_add_f64 v[71:72], v[103:104], v[99:100]
	v_add_f64 v[89:90], v[97:98], -v[81:82]
	v_add_f64 v[91:92], v[99:100], -v[83:84]
	v_add_f64 v[105:106], v[85:86], -v[73:74]
	v_add_f64 v[107:108], v[87:88], -v[75:76]
	v_add_f64 v[109:110], v[73:74], -v[77:78]
	v_add_f64 v[111:112], v[75:76], -v[79:80]
	v_add_f64 v[73:74], v[85:86], v[73:74]
	v_add_f64 v[75:76], v[87:88], v[75:76]
	v_add_f64 v[85:86], v[77:78], -v[85:86]
	v_add_f64 v[87:88], v[79:80], -v[87:88]
	v_add_f64 v[113:114], v[81:82], v[69:70]
	v_add_f64 v[115:116], v[83:84], v[71:72]
	v_add_f64 v[81:82], v[81:82], -v[101:102]
	v_add_f64 v[83:84], v[83:84], -v[103:104]
	v_mul_f64 v[89:90], v[89:90], s[6:7]
	v_mul_f64 v[91:92], v[91:92], s[6:7]
	;; [unrolled: 1-line block ×6, first 2 shown]
	v_add_f64 v[73:74], v[73:74], v[77:78]
	v_add_f64 v[75:76], v[75:76], v[79:80]
	;; [unrolled: 1-line block ×4, first 2 shown]
	v_add_f64 v[93:94], v[101:102], -v[97:98]
	v_add_f64 v[95:96], v[103:104], -v[99:100]
	v_mul_f64 v[97:98], v[81:82], s[4:5]
	v_mul_f64 v[99:100], v[83:84], s[4:5]
	v_fma_f64 v[77:78], v[81:82], s[4:5], v[89:90]
	v_fma_f64 v[79:80], v[83:84], s[4:5], v[91:92]
	;; [unrolled: 1-line block ×4, first 2 shown]
	v_fma_f64 v[101:102], v[109:110], s[12:13], -v[105:106]
	v_fma_f64 v[103:104], v[111:112], s[12:13], -v[107:108]
	;; [unrolled: 1-line block ×4, first 2 shown]
	v_fma_f64 v[105:106], v[113:114], s[14:15], v[69:70]
	v_fma_f64 v[107:108], v[115:116], s[14:15], v[71:72]
	v_fma_f64 v[89:90], v[93:94], s[20:21], -v[89:90]
	v_fma_f64 v[91:92], v[95:96], s[20:21], -v[91:92]
	;; [unrolled: 1-line block ×4, first 2 shown]
	v_fma_f64 v[97:98], v[73:74], s[26:27], v[81:82]
	v_fma_f64 v[99:100], v[75:76], s[26:27], v[83:84]
	;; [unrolled: 1-line block ×6, first 2 shown]
	v_add_f64 v[113:114], v[77:78], v[105:106]
	v_add_f64 v[115:116], v[79:80], v[107:108]
	;; [unrolled: 1-line block ×6, first 2 shown]
	v_mov_b32_e32 v105, 42
	v_add_f64 v[73:74], v[99:100], v[113:114]
	v_add_f64 v[75:76], v[115:116], -v[97:98]
	v_add_f64 v[77:78], v[111:112], v[89:90]
	v_add_f64 v[79:80], v[91:92], -v[109:110]
	v_add_f64 v[81:82], v[85:86], -v[103:104]
	v_add_f64 v[83:84], v[101:102], v[87:88]
	v_add_f64 v[85:86], v[103:104], v[85:86]
	v_add_f64 v[87:88], v[87:88], -v[101:102]
	v_add_f64 v[89:90], v[89:90], -v[111:112]
	v_add_f64 v[91:92], v[109:110], v[91:92]
	v_add_f64 v[93:94], v[113:114], -v[99:100]
	v_add_f64 v[95:96], v[97:98], v[115:116]
	v_mul_u32_u24_sdwa v97, v119, v105 dst_sel:DWORD dst_unused:UNUSED_PAD src0_sel:WORD_0 src1_sel:DWORD
	v_add_nc_u32_sdwa v97, v97, v132 dst_sel:DWORD dst_unused:UNUSED_PAD src0_sel:DWORD src1_sel:BYTE_0
	v_lshl_add_u32 v132, v97, 4, v129
	v_lshlrev_b32_e32 v97, 4, v68
	ds_write_b128 v132, v[69:72]
	ds_write_b128 v132, v[73:76] offset:96
	ds_write_b128 v132, v[77:80] offset:192
	;; [unrolled: 1-line block ×6, first 2 shown]
	s_waitcnt lgkmcnt(0)
	s_barrier
	buffer_gl0_inv
	s_clause 0x5
	global_load_dwordx4 v[72:75], v97, s[0:1] offset:576
	global_load_dwordx4 v[68:71], v97, s[0:1] offset:592
	;; [unrolled: 1-line block ×6, first 2 shown]
	ds_read_b128 v[92:95], v128 offset:672
	ds_read_b128 v[96:99], v128 offset:1344
	;; [unrolled: 1-line block ×6, first 2 shown]
	ds_read_b128 v[116:119], v128
	s_waitcnt vmcnt(5) lgkmcnt(6)
	v_mul_f64 v[125:126], v[94:95], v[74:75]
	v_mul_f64 v[133:134], v[92:93], v[74:75]
	s_waitcnt vmcnt(4) lgkmcnt(5)
	v_mul_f64 v[135:136], v[98:99], v[70:71]
	v_mul_f64 v[137:138], v[96:97], v[70:71]
	;; [unrolled: 3-line block ×6, first 2 shown]
	v_fma_f64 v[92:93], v[92:93], v[72:73], -v[125:126]
	v_fma_f64 v[94:95], v[94:95], v[72:73], v[133:134]
	v_fma_f64 v[96:97], v[96:97], v[68:69], -v[135:136]
	v_fma_f64 v[98:99], v[98:99], v[68:69], v[137:138]
	;; [unrolled: 2-line block ×6, first 2 shown]
	v_add_f64 v[125:126], v[92:93], v[100:101]
	v_add_f64 v[133:134], v[94:95], v[102:103]
	;; [unrolled: 1-line block ×4, first 2 shown]
	v_add_f64 v[96:97], v[96:97], -v[104:105]
	v_add_f64 v[98:99], v[98:99], -v[106:107]
	v_add_f64 v[104:105], v[108:109], v[112:113]
	v_add_f64 v[106:107], v[110:111], v[114:115]
	v_add_f64 v[108:109], v[112:113], -v[108:109]
	v_add_f64 v[110:111], v[114:115], -v[110:111]
	;; [unrolled: 1-line block ×4, first 2 shown]
	v_add_f64 v[100:101], v[135:136], v[125:126]
	v_add_f64 v[102:103], v[137:138], v[133:134]
	v_add_f64 v[112:113], v[125:126], -v[104:105]
	v_add_f64 v[114:115], v[133:134], -v[106:107]
	;; [unrolled: 1-line block ×6, first 2 shown]
	v_add_f64 v[96:97], v[108:109], v[96:97]
	v_add_f64 v[149:150], v[110:111], v[98:99]
	v_add_f64 v[108:109], v[92:93], -v[108:109]
	v_add_f64 v[110:111], v[94:95], -v[110:111]
	v_add_f64 v[147:148], v[104:105], v[100:101]
	v_add_f64 v[102:103], v[106:107], v[102:103]
	v_add_f64 v[104:105], v[104:105], -v[135:136]
	v_add_f64 v[106:107], v[106:107], -v[137:138]
	v_mul_f64 v[112:113], v[112:113], s[6:7]
	v_mul_f64 v[114:115], v[114:115], s[6:7]
	;; [unrolled: 1-line block ×6, first 2 shown]
	v_add_f64 v[92:93], v[96:97], v[92:93]
	v_add_f64 v[94:95], v[149:150], v[94:95]
	s_waitcnt lgkmcnt(0)
	v_add_f64 v[98:99], v[116:117], v[147:148]
	v_add_f64 v[100:101], v[118:119], v[102:103]
	v_add_f64 v[116:117], v[135:136], -v[125:126]
	v_add_f64 v[118:119], v[137:138], -v[133:134]
	v_mul_f64 v[125:126], v[104:105], s[4:5]
	v_mul_f64 v[133:134], v[106:107], s[4:5]
	v_fma_f64 v[96:97], v[104:105], s[4:5], v[112:113]
	v_fma_f64 v[104:105], v[106:107], s[4:5], v[114:115]
	;; [unrolled: 1-line block ×4, first 2 shown]
	v_fma_f64 v[137:138], v[143:144], s[12:13], -v[139:140]
	v_fma_f64 v[139:140], v[145:146], s[12:13], -v[141:142]
	v_fma_f64 v[108:109], v[108:109], s[24:25], -v[151:152]
	v_fma_f64 v[110:111], v[110:111], s[24:25], -v[153:154]
	v_fma_f64 v[141:142], v[147:148], s[14:15], v[98:99]
	v_fma_f64 v[102:103], v[102:103], s[14:15], v[100:101]
	v_fma_f64 v[112:113], v[116:117], s[20:21], -v[112:113]
	v_fma_f64 v[114:115], v[118:119], s[20:21], -v[114:115]
	;; [unrolled: 1-line block ×4, first 2 shown]
	v_fma_f64 v[125:126], v[92:93], s[26:27], v[106:107]
	v_fma_f64 v[143:144], v[94:95], s[26:27], v[135:136]
	;; [unrolled: 1-line block ×6, first 2 shown]
	v_add_f64 v[96:97], v[96:97], v[141:142]
	v_add_f64 v[137:138], v[104:105], v[102:103]
	;; [unrolled: 1-line block ×7, first 2 shown]
	v_add_f64 v[104:105], v[137:138], -v[125:126]
	v_add_f64 v[106:107], v[94:95], v[139:140]
	v_add_f64 v[108:109], v[145:146], -v[92:93]
	v_add_f64 v[110:111], v[114:115], -v[135:136]
	v_add_f64 v[112:113], v[133:134], v[116:117]
	v_add_f64 v[114:115], v[135:136], v[114:115]
	v_add_f64 v[116:117], v[116:117], -v[133:134]
	v_add_f64 v[133:134], v[139:140], -v[94:95]
	v_add_f64 v[135:136], v[92:93], v[145:146]
	v_add_f64 v[92:93], v[96:97], -v[143:144]
	v_add_f64 v[94:95], v[125:126], v[137:138]
	v_add_co_u32 v125, s0, 0x1000, v120
	v_add_co_ci_u32_e64 v126, s0, 0, v121, s0
	v_add_co_u32 v96, s0, 0x1260, v120
	v_add_co_ci_u32_e64 v97, s0, 0, v121, s0
	;; [unrolled: 2-line block ×3, first 2 shown]
	ds_write_b128 v128, v[98:101]
	ds_write_b128 v128, v[102:105] offset:672
	ds_write_b128 v128, v[106:109] offset:1344
	;; [unrolled: 1-line block ×6, first 2 shown]
	v_add_co_u32 v133, s0, 0x2000, v120
	s_waitcnt lgkmcnt(0)
	s_barrier
	buffer_gl0_inv
	s_clause 0x2
	global_load_dwordx4 v[98:101], v[125:126], off offset:608
	global_load_dwordx4 v[102:105], v[96:97], off offset:784
	;; [unrolled: 1-line block ×3, first 2 shown]
	v_add_co_ci_u32_e64 v134, s0, 0, v121, s0
	s_clause 0x2
	global_load_dwordx4 v[110:113], v[118:119], off offset:912
	global_load_dwordx4 v[114:117], v[118:119], off offset:1696
	;; [unrolled: 1-line block ×3, first 2 shown]
	ds_read_b128 v[137:140], v128
	ds_read_b128 v[141:144], v128 offset:784
	ds_read_b128 v[145:148], v128 offset:1568
	;; [unrolled: 1-line block ×5, first 2 shown]
	s_waitcnt vmcnt(5) lgkmcnt(5)
	v_mul_f64 v[118:119], v[139:140], v[100:101]
	v_mul_f64 v[100:101], v[137:138], v[100:101]
	s_waitcnt vmcnt(4) lgkmcnt(4)
	v_mul_f64 v[161:162], v[143:144], v[104:105]
	v_mul_f64 v[104:105], v[141:142], v[104:105]
	;; [unrolled: 3-line block ×6, first 2 shown]
	v_fma_f64 v[116:117], v[137:138], v[98:99], -v[118:119]
	v_fma_f64 v[118:119], v[139:140], v[98:99], v[100:101]
	v_fma_f64 v[98:99], v[141:142], v[102:103], -v[161:162]
	v_fma_f64 v[100:101], v[143:144], v[102:103], v[104:105]
	v_fma_f64 v[102:103], v[145:146], v[106:107], -v[163:164]
	v_fma_f64 v[104:105], v[147:148], v[106:107], v[108:109]
	v_fma_f64 v[106:107], v[149:150], v[110:111], -v[165:166]
	v_fma_f64 v[108:109], v[151:152], v[110:111], v[112:113]
	v_fma_f64 v[110:111], v[153:154], v[114:115], -v[167:168]
	v_fma_f64 v[112:113], v[155:156], v[114:115], v[169:170]
	v_fma_f64 v[135:136], v[157:158], v[133:134], -v[171:172]
	v_fma_f64 v[137:138], v[159:160], v[133:134], v[173:174]
	ds_write_b128 v128, v[116:119]
	ds_write_b128 v128, v[98:101] offset:784
	ds_write_b128 v128, v[102:105] offset:1568
	;; [unrolled: 1-line block ×5, first 2 shown]
	s_and_saveexec_b32 s1, vcc_lo
	s_cbranch_execz .LBB0_9
; %bb.8:
	v_add_co_u32 v114, s0, 0x800, v96
	v_add_co_ci_u32_e64 v115, s0, 0, v97, s0
	s_clause 0x2
	global_load_dwordx4 v[98:101], v[96:97], off offset:672
	global_load_dwordx4 v[102:105], v[96:97], off offset:1456
	;; [unrolled: 1-line block ×3, first 2 shown]
	v_add_co_u32 v96, s0, 0x1000, v96
	v_add_co_ci_u32_e64 v97, s0, 0, v97, s0
	s_clause 0x2
	global_load_dwordx4 v[110:113], v[114:115], off offset:976
	global_load_dwordx4 v[114:117], v[114:115], off offset:1760
	;; [unrolled: 1-line block ×3, first 2 shown]
	ds_read_b128 v[137:140], v128 offset:672
	ds_read_b128 v[141:144], v128 offset:1456
	;; [unrolled: 1-line block ×6, first 2 shown]
	s_waitcnt vmcnt(5) lgkmcnt(5)
	v_mul_f64 v[96:97], v[139:140], v[100:101]
	v_mul_f64 v[100:101], v[137:138], v[100:101]
	s_waitcnt vmcnt(4) lgkmcnt(4)
	v_mul_f64 v[118:119], v[143:144], v[104:105]
	v_mul_f64 v[104:105], v[141:142], v[104:105]
	s_waitcnt vmcnt(3) lgkmcnt(3)
	v_mul_f64 v[161:162], v[147:148], v[108:109]
	v_mul_f64 v[108:109], v[145:146], v[108:109]
	s_waitcnt vmcnt(2) lgkmcnt(2)
	v_mul_f64 v[163:164], v[151:152], v[112:113]
	v_mul_f64 v[112:113], v[149:150], v[112:113]
	s_waitcnt vmcnt(1) lgkmcnt(1)
	v_mul_f64 v[165:166], v[155:156], v[116:117]
	v_mul_f64 v[116:117], v[153:154], v[116:117]
	s_waitcnt vmcnt(0) lgkmcnt(0)
	v_mul_f64 v[167:168], v[159:160], v[135:136]
	v_mul_f64 v[135:136], v[157:158], v[135:136]
	v_fma_f64 v[96:97], v[137:138], v[98:99], -v[96:97]
	v_fma_f64 v[98:99], v[139:140], v[98:99], v[100:101]
	v_fma_f64 v[100:101], v[141:142], v[102:103], -v[118:119]
	v_fma_f64 v[102:103], v[143:144], v[102:103], v[104:105]
	;; [unrolled: 2-line block ×6, first 2 shown]
	ds_write_b128 v128, v[96:99] offset:672
	ds_write_b128 v128, v[100:103] offset:1456
	;; [unrolled: 1-line block ×6, first 2 shown]
.LBB0_9:
	s_or_b32 exec_lo, exec_lo, s1
	s_waitcnt lgkmcnt(0)
	s_barrier
	buffer_gl0_inv
	ds_read_b128 v[104:107], v128
	ds_read_b128 v[108:111], v128 offset:784
	ds_read_b128 v[116:119], v128 offset:1568
	;; [unrolled: 1-line block ×5, first 2 shown]
	s_and_saveexec_b32 s0, vcc_lo
	s_cbranch_execz .LBB0_11
; %bb.10:
	v_lshl_add_u32 v48, v127, 4, v129
	ds_read_b128 v[92:95], v128 offset:672
	ds_read_b128 v[24:27], v48 offset:1456
	;; [unrolled: 1-line block ×6, first 2 shown]
.LBB0_11:
	s_or_b32 exec_lo, exec_lo, s0
	s_waitcnt lgkmcnt(0)
	v_add_f64 v[133:134], v[114:115], v[98:99]
	v_add_f64 v[135:136], v[112:113], v[96:97]
	v_add_f64 v[137:138], v[112:113], -v[96:97]
	s_mov_b32 s0, 0xe8584caa
	s_mov_b32 s1, 0xbfebb67a
	;; [unrolled: 1-line block ×4, first 2 shown]
	v_add_f64 v[139:140], v[116:117], v[100:101]
	v_add_f64 v[141:142], v[118:119], v[102:103]
	v_add_f64 v[143:144], v[114:115], -v[98:99]
	v_add_f64 v[147:148], v[118:119], -v[102:103]
	v_add_f64 v[118:119], v[106:107], v[118:119]
	s_barrier
	buffer_gl0_inv
	v_fma_f64 v[133:134], v[133:134], -0.5, v[110:111]
	v_fma_f64 v[135:136], v[135:136], -0.5, v[108:109]
	v_add_f64 v[108:109], v[108:109], v[112:113]
	v_add_f64 v[110:111], v[110:111], v[114:115]
	v_fma_f64 v[106:107], v[141:142], -0.5, v[106:107]
	v_add_f64 v[102:103], v[118:119], v[102:103]
	v_fma_f64 v[145:146], v[137:138], s[4:5], v[133:134]
	v_fma_f64 v[133:134], v[137:138], s[0:1], v[133:134]
	v_add_f64 v[137:138], v[104:105], v[116:117]
	v_add_f64 v[116:117], v[116:117], -v[100:101]
	v_fma_f64 v[104:105], v[139:140], -0.5, v[104:105]
	v_fma_f64 v[112:113], v[143:144], s[0:1], v[135:136]
	v_fma_f64 v[114:115], v[143:144], s[4:5], v[135:136]
	v_add_f64 v[108:109], v[108:109], v[96:97]
	v_add_f64 v[110:111], v[110:111], v[98:99]
	v_mul_f64 v[135:136], v[145:146], s[0:1]
	v_mul_f64 v[139:140], v[133:134], s[0:1]
	v_mul_f64 v[141:142], v[145:146], 0.5
	v_mul_f64 v[133:134], v[133:134], -0.5
	v_add_f64 v[100:101], v[137:138], v[100:101]
	v_fma_f64 v[118:119], v[147:148], s[0:1], v[104:105]
	v_fma_f64 v[143:144], v[116:117], s[4:5], v[106:107]
	;; [unrolled: 1-line block ×4, first 2 shown]
	v_add_f64 v[98:99], v[102:103], v[110:111]
	v_add_f64 v[102:103], v[102:103], -v[110:111]
	v_fma_f64 v[116:117], v[112:113], 0.5, v[135:136]
	v_fma_f64 v[135:136], v[114:115], -0.5, v[139:140]
	v_fma_f64 v[139:140], v[112:113], s[4:5], v[141:142]
	v_fma_f64 v[133:134], v[114:115], s[4:5], v[133:134]
	v_add_f64 v[96:97], v[100:101], v[108:109]
	v_add_f64 v[100:101], v[100:101], -v[108:109]
	v_add_f64 v[104:105], v[118:119], v[116:117]
	v_add_f64 v[108:109], v[137:138], v[135:136]
	;; [unrolled: 1-line block ×4, first 2 shown]
	v_add_f64 v[112:113], v[118:119], -v[116:117]
	v_add_f64 v[114:115], v[143:144], -v[139:140]
	v_add_f64 v[116:117], v[137:138], -v[135:136]
	v_add_f64 v[118:119], v[145:146], -v[133:134]
	ds_write_b128 v131, v[96:99]
	ds_write_b128 v131, v[100:103] offset:48
	ds_write_b128 v131, v[104:107] offset:16
	;; [unrolled: 1-line block ×5, first 2 shown]
	s_and_saveexec_b32 s6, vcc_lo
	s_cbranch_execz .LBB0_13
; %bb.12:
	v_add_f64 v[96:97], v[38:39], v[50:51]
	v_add_f64 v[98:99], v[36:37], v[48:49]
	v_add_f64 v[100:101], v[36:37], -v[48:49]
	v_add_f64 v[102:103], v[42:43], v[46:47]
	v_add_f64 v[104:105], v[38:39], -v[50:51]
	v_add_f64 v[108:109], v[40:41], -v[44:45]
	v_add_f64 v[110:111], v[94:95], v[42:43]
	v_fma_f64 v[96:97], v[96:97], -0.5, v[26:27]
	v_fma_f64 v[98:99], v[98:99], -0.5, v[24:25]
	v_add_f64 v[26:27], v[26:27], v[38:39]
	v_add_f64 v[24:25], v[24:25], v[36:37]
	v_add_f64 v[38:39], v[42:43], -v[46:47]
	v_fma_f64 v[36:37], v[102:103], -0.5, v[94:95]
	v_add_f64 v[46:47], v[110:111], v[46:47]
	v_fma_f64 v[106:107], v[100:101], s[0:1], v[96:97]
	v_fma_f64 v[96:97], v[100:101], s[4:5], v[96:97]
	v_add_f64 v[100:101], v[40:41], v[44:45]
	v_add_f64 v[40:41], v[92:93], v[40:41]
	v_fma_f64 v[94:95], v[104:105], s[0:1], v[98:99]
	v_fma_f64 v[42:43], v[104:105], s[4:5], v[98:99]
	v_add_f64 v[50:51], v[26:27], v[50:51]
	v_fma_f64 v[104:105], v[108:109], s[4:5], v[36:37]
	v_mul_f64 v[98:99], v[106:107], -0.5
	v_mul_f64 v[102:103], v[96:97], 0.5
	v_fma_f64 v[92:93], v[100:101], -0.5, v[92:93]
	v_mul_f64 v[96:97], v[96:97], s[0:1]
	v_mul_f64 v[100:101], v[106:107], s[0:1]
	v_add_f64 v[40:41], v[40:41], v[44:45]
	v_add_f64 v[44:45], v[24:25], v[48:49]
	v_fma_f64 v[48:49], v[108:109], s[0:1], v[36:37]
	v_add_f64 v[26:27], v[46:47], -v[50:51]
	v_fma_f64 v[98:99], v[42:43], s[4:5], v[98:99]
	v_fma_f64 v[102:103], v[94:95], s[4:5], v[102:103]
	;; [unrolled: 1-line block ×3, first 2 shown]
	v_fma_f64 v[96:97], v[94:95], 0.5, v[96:97]
	v_fma_f64 v[106:107], v[38:39], s[4:5], v[92:93]
	v_fma_f64 v[100:101], v[42:43], -0.5, v[100:101]
	v_add_f64 v[38:39], v[46:47], v[50:51]
	v_add_f64 v[36:37], v[40:41], v[44:45]
	v_add_f64 v[24:25], v[40:41], -v[44:45]
	v_add_f64 v[42:43], v[48:49], -v[98:99]
	v_add_f64 v[94:95], v[104:105], v[102:103]
	v_add_f64 v[50:51], v[48:49], v[98:99]
	;; [unrolled: 1-line block ×3, first 2 shown]
	v_add_f64 v[46:47], v[104:105], -v[102:103]
	v_add_f64 v[48:49], v[106:107], v[100:101]
	v_add_f64 v[44:45], v[108:109], -v[96:97]
	v_add_f64 v[40:41], v[106:107], -v[100:101]
	v_lshl_add_u32 v96, v130, 4, v129
	ds_write_b128 v96, v[36:39]
	ds_write_b128 v96, v[24:27] offset:48
	ds_write_b128 v96, v[92:95] offset:16
	;; [unrolled: 1-line block ×5, first 2 shown]
.LBB0_13:
	s_or_b32 exec_lo, exec_lo, s6
	s_waitcnt lgkmcnt(0)
	s_barrier
	buffer_gl0_inv
	ds_read_b128 v[24:27], v128 offset:672
	ds_read_b128 v[36:39], v128 offset:1344
	;; [unrolled: 1-line block ×6, first 2 shown]
	s_mov_b32 s4, 0x37e14327
	s_mov_b32 s14, 0xe976ee23
	s_mov_b32 s5, 0x3fe948f6
	s_mov_b32 s15, 0x3fe11646
	s_mov_b32 s6, 0x429ad128
	s_mov_b32 s0, 0x36b3c0b5
	s_mov_b32 s7, 0xbfebfeb5
	s_mov_b32 s1, 0x3fac98ee
	s_mov_b32 s12, 0xaaaaaaaa
	s_mov_b32 s20, 0xb247c609
	s_mov_b32 s13, 0xbff2aaaa
	s_mov_b32 s16, 0x5476071b
	s_mov_b32 s21, 0xbfd5d0dc
	s_mov_b32 s17, 0x3fe77f67
	s_waitcnt lgkmcnt(5)
	v_mul_f64 v[96:97], v[34:35], v[26:27]
	v_mul_f64 v[34:35], v[34:35], v[24:25]
	s_waitcnt lgkmcnt(4)
	v_mul_f64 v[98:99], v[30:31], v[38:39]
	v_mul_f64 v[30:31], v[30:31], v[36:37]
	;; [unrolled: 3-line block ×6, first 2 shown]
	s_mov_b32 s19, 0xbfe77f67
	s_mov_b32 s23, 0x3fd5d0dc
	;; [unrolled: 1-line block ×6, first 2 shown]
	v_fma_f64 v[24:25], v[32:33], v[24:25], v[96:97]
	v_fma_f64 v[26:27], v[32:33], v[26:27], -v[34:35]
	v_fma_f64 v[32:33], v[28:29], v[36:37], v[98:99]
	v_fma_f64 v[28:29], v[28:29], v[38:39], -v[30:31]
	;; [unrolled: 2-line block ×6, first 2 shown]
	v_add_f64 v[48:49], v[24:25], v[30:31]
	v_add_f64 v[50:51], v[26:27], v[34:35]
	;; [unrolled: 1-line block ×4, first 2 shown]
	v_add_f64 v[32:33], v[32:33], -v[36:37]
	v_add_f64 v[28:29], v[28:29], -v[38:39]
	v_add_f64 v[36:37], v[40:41], v[44:45]
	v_add_f64 v[38:39], v[42:43], v[46:47]
	v_add_f64 v[40:41], v[44:45], -v[40:41]
	v_add_f64 v[42:43], v[46:47], -v[42:43]
	;; [unrolled: 1-line block ×4, first 2 shown]
	ds_read_b128 v[24:27], v128
	s_waitcnt lgkmcnt(0)
	s_barrier
	buffer_gl0_inv
	v_add_f64 v[44:45], v[52:53], v[48:49]
	v_add_f64 v[46:47], v[54:55], v[50:51]
	v_add_f64 v[56:57], v[48:49], -v[36:37]
	v_add_f64 v[58:59], v[50:51], -v[38:39]
	;; [unrolled: 1-line block ×6, first 2 shown]
	v_add_f64 v[32:33], v[40:41], v[32:33]
	v_add_f64 v[28:29], v[42:43], v[28:29]
	v_add_f64 v[40:41], v[30:31], -v[40:41]
	v_add_f64 v[42:43], v[34:35], -v[42:43]
	;; [unrolled: 1-line block ×4, first 2 shown]
	v_add_f64 v[44:45], v[36:37], v[44:45]
	v_add_f64 v[46:47], v[38:39], v[46:47]
	v_add_f64 v[36:37], v[36:37], -v[52:53]
	v_add_f64 v[38:39], v[38:39], -v[54:55]
	v_mul_f64 v[56:57], v[56:57], s[4:5]
	v_mul_f64 v[58:59], v[58:59], s[4:5]
	;; [unrolled: 1-line block ×6, first 2 shown]
	v_add_f64 v[30:31], v[32:33], v[30:31]
	v_add_f64 v[28:29], v[28:29], v[34:35]
	;; [unrolled: 1-line block ×4, first 2 shown]
	v_mul_f64 v[52:53], v[36:37], s[0:1]
	v_mul_f64 v[54:55], v[38:39], s[0:1]
	v_fma_f64 v[32:33], v[36:37], s[0:1], v[56:57]
	v_fma_f64 v[34:35], v[38:39], s[0:1], v[58:59]
	;; [unrolled: 1-line block ×4, first 2 shown]
	v_fma_f64 v[40:41], v[40:41], s[22:23], -v[92:93]
	v_fma_f64 v[42:43], v[42:43], s[22:23], -v[94:95]
	v_fma_f64 v[56:57], v[48:49], s[18:19], -v[56:57]
	v_fma_f64 v[58:59], v[50:51], s[18:19], -v[58:59]
	v_fma_f64 v[60:61], v[64:65], s[6:7], -v[60:61]
	v_fma_f64 v[62:63], v[66:67], s[6:7], -v[62:63]
	v_fma_f64 v[44:45], v[44:45], s[12:13], v[24:25]
	v_fma_f64 v[46:47], v[46:47], s[12:13], v[26:27]
	v_fma_f64 v[48:49], v[48:49], s[16:17], -v[52:53]
	v_fma_f64 v[50:51], v[50:51], s[16:17], -v[54:55]
	v_fma_f64 v[52:53], v[30:31], s[24:25], v[36:37]
	v_fma_f64 v[54:55], v[28:29], s[24:25], v[38:39]
	v_fma_f64 v[64:65], v[30:31], s[24:25], v[40:41]
	v_fma_f64 v[66:67], v[28:29], s[24:25], v[42:43]
	v_fma_f64 v[60:61], v[30:31], s[24:25], v[60:61]
	v_fma_f64 v[62:63], v[28:29], s[24:25], v[62:63]
	v_add_f64 v[92:93], v[32:33], v[44:45]
	v_add_f64 v[94:95], v[34:35], v[46:47]
	;; [unrolled: 1-line block ×7, first 2 shown]
	v_add_f64 v[30:31], v[94:95], -v[52:53]
	v_add_f64 v[32:33], v[66:67], v[56:57]
	v_add_f64 v[34:35], v[58:59], -v[64:65]
	v_add_f64 v[36:37], v[40:41], -v[62:63]
	v_add_f64 v[38:39], v[60:61], v[42:43]
	v_add_f64 v[40:41], v[62:63], v[40:41]
	v_add_f64 v[42:43], v[42:43], -v[60:61]
	v_add_f64 v[44:45], v[56:57], -v[66:67]
	v_add_f64 v[46:47], v[64:65], v[58:59]
	v_add_f64 v[48:49], v[92:93], -v[54:55]
	v_add_f64 v[50:51], v[52:53], v[94:95]
	ds_write_b128 v132, v[24:27]
	ds_write_b128 v132, v[28:31] offset:96
	ds_write_b128 v132, v[32:35] offset:192
	;; [unrolled: 1-line block ×6, first 2 shown]
	s_waitcnt lgkmcnt(0)
	s_barrier
	buffer_gl0_inv
	ds_read_b128 v[24:27], v128 offset:672
	ds_read_b128 v[28:31], v128 offset:1344
	;; [unrolled: 1-line block ×6, first 2 shown]
	s_waitcnt lgkmcnt(5)
	v_mul_f64 v[48:49], v[74:75], v[26:27]
	v_mul_f64 v[50:51], v[74:75], v[24:25]
	s_waitcnt lgkmcnt(4)
	v_mul_f64 v[52:53], v[70:71], v[30:31]
	v_mul_f64 v[54:55], v[70:71], v[28:29]
	;; [unrolled: 3-line block ×6, first 2 shown]
	v_fma_f64 v[24:25], v[72:73], v[24:25], v[48:49]
	v_fma_f64 v[26:27], v[72:73], v[26:27], -v[50:51]
	v_fma_f64 v[28:29], v[68:69], v[28:29], v[52:53]
	v_fma_f64 v[30:31], v[68:69], v[30:31], -v[54:55]
	;; [unrolled: 2-line block ×6, first 2 shown]
	v_add_f64 v[48:49], v[24:25], v[32:33]
	v_add_f64 v[50:51], v[26:27], v[34:35]
	;; [unrolled: 1-line block ×4, first 2 shown]
	v_add_f64 v[28:29], v[28:29], -v[36:37]
	v_add_f64 v[30:31], v[30:31], -v[38:39]
	v_add_f64 v[36:37], v[40:41], v[44:45]
	v_add_f64 v[38:39], v[42:43], v[46:47]
	v_add_f64 v[40:41], v[44:45], -v[40:41]
	v_add_f64 v[42:43], v[46:47], -v[42:43]
	;; [unrolled: 1-line block ×4, first 2 shown]
	v_add_f64 v[24:25], v[52:53], v[48:49]
	v_add_f64 v[26:27], v[54:55], v[50:51]
	v_add_f64 v[44:45], v[48:49], -v[36:37]
	v_add_f64 v[46:47], v[50:51], -v[38:39]
	;; [unrolled: 1-line block ×6, first 2 shown]
	v_add_f64 v[28:29], v[40:41], v[28:29]
	v_add_f64 v[30:31], v[42:43], v[30:31]
	v_add_f64 v[40:41], v[32:33], -v[40:41]
	v_add_f64 v[42:43], v[34:35], -v[42:43]
	;; [unrolled: 1-line block ×4, first 2 shown]
	v_add_f64 v[64:65], v[36:37], v[24:25]
	v_add_f64 v[66:67], v[38:39], v[26:27]
	ds_read_b128 v[24:27], v128
	v_add_f64 v[36:37], v[36:37], -v[52:53]
	v_add_f64 v[38:39], v[38:39], -v[54:55]
	v_mul_f64 v[44:45], v[44:45], s[4:5]
	v_mul_f64 v[46:47], v[46:47], s[4:5]
	;; [unrolled: 1-line block ×6, first 2 shown]
	v_add_f64 v[28:29], v[28:29], v[32:33]
	v_add_f64 v[30:31], v[30:31], v[34:35]
	s_mov_b32 s4, 0x899406f7
	s_mov_b32 s5, 0x3f6bdd2b
	s_waitcnt lgkmcnt(0)
	v_add_f64 v[24:25], v[24:25], v[64:65]
	v_add_f64 v[26:27], v[26:27], v[66:67]
	v_mul_f64 v[52:53], v[36:37], s[0:1]
	v_mul_f64 v[54:55], v[38:39], s[0:1]
	v_fma_f64 v[32:33], v[36:37], s[0:1], v[44:45]
	v_fma_f64 v[34:35], v[38:39], s[0:1], v[46:47]
	v_fma_f64 v[36:37], v[40:41], s[20:21], v[56:57]
	v_fma_f64 v[38:39], v[42:43], s[20:21], v[58:59]
	v_fma_f64 v[56:57], v[60:61], s[6:7], -v[56:57]
	v_fma_f64 v[58:59], v[62:63], s[6:7], -v[58:59]
	v_fma_f64 v[40:41], v[40:41], s[22:23], -v[68:69]
	v_fma_f64 v[42:43], v[42:43], s[22:23], -v[70:71]
	v_fma_f64 v[44:45], v[48:49], s[18:19], -v[44:45]
	v_fma_f64 v[46:47], v[50:51], s[18:19], -v[46:47]
	s_mul_i32 s1, s9, 49
	s_mul_hi_u32 s7, s8, 49
	s_mul_i32 s6, s8, 49
	s_add_i32 s7, s7, s1
	v_fma_f64 v[60:61], v[64:65], s[12:13], v[24:25]
	v_fma_f64 v[62:63], v[66:67], s[12:13], v[26:27]
	v_fma_f64 v[48:49], v[48:49], s[16:17], -v[52:53]
	v_fma_f64 v[50:51], v[50:51], s[16:17], -v[54:55]
	v_fma_f64 v[52:53], v[28:29], s[24:25], v[36:37]
	v_fma_f64 v[54:55], v[30:31], s[24:25], v[38:39]
	;; [unrolled: 1-line block ×6, first 2 shown]
	v_add_f64 v[68:69], v[32:33], v[60:61]
	v_add_f64 v[70:71], v[34:35], v[62:63]
	;; [unrolled: 1-line block ×7, first 2 shown]
	v_add_f64 v[30:31], v[70:71], -v[52:53]
	v_add_f64 v[32:33], v[66:67], v[44:45]
	v_add_f64 v[34:35], v[46:47], -v[64:65]
	v_add_f64 v[36:37], v[40:41], -v[58:59]
	v_add_f64 v[38:39], v[56:57], v[42:43]
	v_add_f64 v[40:41], v[58:59], v[40:41]
	v_add_f64 v[42:43], v[42:43], -v[56:57]
	v_add_f64 v[44:45], v[44:45], -v[66:67]
	v_add_f64 v[46:47], v[64:65], v[46:47]
	v_add_f64 v[48:49], v[68:69], -v[54:55]
	v_add_f64 v[50:51], v[52:53], v[70:71]
	v_mad_u64_u32 v[52:53], null, s10, v124, 0
	ds_write_b128 v128, v[24:27]
	ds_write_b128 v128, v[28:31] offset:672
	ds_write_b128 v128, v[32:35] offset:1344
	;; [unrolled: 1-line block ×6, first 2 shown]
	s_waitcnt lgkmcnt(0)
	s_barrier
	buffer_gl0_inv
	ds_read_b128 v[24:27], v128
	ds_read_b128 v[28:31], v128 offset:784
	ds_read_b128 v[32:35], v128 offset:1568
	;; [unrolled: 1-line block ×5, first 2 shown]
	v_mov_b32_e32 v50, v53
	v_mad_u64_u32 v[48:49], null, s8, v127, 0
	v_mad_u64_u32 v[50:51], null, s11, v124, v[50:51]
	;; [unrolled: 1-line block ×3, first 2 shown]
	v_mov_b32_e32 v53, v50
	s_waitcnt lgkmcnt(5)
	v_mul_f64 v[50:51], v[2:3], v[26:27]
	v_mul_f64 v[2:3], v[2:3], v[24:25]
	s_waitcnt lgkmcnt(4)
	v_mul_f64 v[55:56], v[6:7], v[30:31]
	v_mul_f64 v[6:7], v[6:7], v[28:29]
	;; [unrolled: 3-line block ×6, first 2 shown]
	v_mov_b32_e32 v49, v54
	v_lshlrev_b64 v[52:53], 4, v[52:53]
	v_lshlrev_b64 v[48:49], 4, v[48:49]
	v_add_co_u32 v52, s0, s2, v52
	v_add_co_ci_u32_e64 v53, s0, s3, v53, s0
	v_fma_f64 v[24:25], v[0:1], v[24:25], v[50:51]
	v_fma_f64 v[0:1], v[0:1], v[26:27], -v[2:3]
	v_fma_f64 v[26:27], v[4:5], v[28:29], v[55:56]
	v_fma_f64 v[28:29], v[4:5], v[30:31], -v[6:7]
	;; [unrolled: 2-line block ×6, first 2 shown]
	v_add_co_u32 v42, s0, v52, v48
	v_add_co_ci_u32_e64 v43, s0, v53, v49, s0
	s_lshl_b64 s[2:3], s[6:7], 4
	v_add_co_u32 v44, s0, v42, s2
	v_add_co_ci_u32_e64 v45, s0, s3, v43, s0
	v_mul_f64 v[2:3], v[24:25], s[4:5]
	v_mul_f64 v[4:5], v[0:1], s[4:5]
	;; [unrolled: 1-line block ×3, first 2 shown]
	v_add_co_u32 v26, s0, v44, s2
	v_mul_f64 v[8:9], v[28:29], s[4:5]
	v_mul_f64 v[10:11], v[30:31], s[4:5]
	;; [unrolled: 1-line block ×3, first 2 shown]
	v_add_co_ci_u32_e64 v27, s0, s3, v45, s0
	v_mul_f64 v[14:15], v[34:35], s[4:5]
	v_mul_f64 v[16:17], v[16:17], s[4:5]
	;; [unrolled: 1-line block ×6, first 2 shown]
	v_add_co_u32 v28, s0, v26, s2
	v_add_co_ci_u32_e64 v29, s0, s3, v27, s0
	v_add_co_u32 v30, s0, v28, s2
	v_add_co_ci_u32_e64 v31, s0, s3, v29, s0
	;; [unrolled: 2-line block ×3, first 2 shown]
	global_store_dwordx4 v[42:43], v[2:5], off
	global_store_dwordx4 v[44:45], v[6:9], off
	;; [unrolled: 1-line block ×6, first 2 shown]
	s_and_b32 exec_lo, exec_lo, vcc_lo
	s_cbranch_execz .LBB0_15
; %bb.14:
	s_clause 0x5
	global_load_dwordx4 v[2:5], v[120:121], off offset:672
	global_load_dwordx4 v[6:9], v[120:121], off offset:1456
	;; [unrolled: 1-line block ×6, first 2 shown]
	ds_read_b128 v[26:29], v128 offset:672
	ds_read_b128 v[30:33], v128 offset:1456
	ds_read_b128 v[34:37], v128 offset:2240
	ds_read_b128 v[38:41], v128 offset:3024
	ds_read_b128 v[42:45], v128 offset:3808
	ds_read_b128 v[46:49], v128 offset:4592
	v_mad_u64_u32 v[62:63], null, 0xfffff350, s8, v[0:1]
	s_mul_i32 s0, s9, 0xfffff350
	s_sub_i32 s0, s0, s8
	v_add_nc_u32_e32 v63, s0, v63
	s_waitcnt vmcnt(5) lgkmcnt(5)
	v_mul_f64 v[50:51], v[28:29], v[4:5]
	v_mul_f64 v[4:5], v[26:27], v[4:5]
	s_waitcnt vmcnt(4) lgkmcnt(4)
	v_mul_f64 v[52:53], v[32:33], v[8:9]
	v_mul_f64 v[8:9], v[30:31], v[8:9]
	;; [unrolled: 3-line block ×6, first 2 shown]
	v_fma_f64 v[0:1], v[26:27], v[2:3], v[50:51]
	v_fma_f64 v[2:3], v[2:3], v[28:29], -v[4:5]
	v_fma_f64 v[4:5], v[30:31], v[6:7], v[52:53]
	v_fma_f64 v[6:7], v[6:7], v[32:33], -v[8:9]
	;; [unrolled: 2-line block ×6, first 2 shown]
	v_add_co_u32 v24, vcc_lo, v62, s2
	v_add_co_ci_u32_e32 v25, vcc_lo, s3, v63, vcc_lo
	v_add_co_u32 v26, vcc_lo, v24, s2
	v_add_co_ci_u32_e32 v27, vcc_lo, s3, v25, vcc_lo
	v_add_co_u32 v28, vcc_lo, v26, s2
	v_mul_f64 v[0:1], v[0:1], s[4:5]
	v_mul_f64 v[2:3], v[2:3], s[4:5]
	;; [unrolled: 1-line block ×12, first 2 shown]
	v_add_co_ci_u32_e32 v29, vcc_lo, s3, v27, vcc_lo
	v_add_co_u32 v30, vcc_lo, v28, s2
	v_add_co_ci_u32_e32 v31, vcc_lo, s3, v29, vcc_lo
	v_add_co_u32 v32, vcc_lo, v30, s2
	v_add_co_ci_u32_e32 v33, vcc_lo, s3, v31, vcc_lo
	global_store_dwordx4 v[62:63], v[0:3], off
	global_store_dwordx4 v[24:25], v[4:7], off
	;; [unrolled: 1-line block ×6, first 2 shown]
.LBB0_15:
	s_endpgm
	.section	.rodata,"a",@progbits
	.p2align	6, 0x0
	.amdhsa_kernel bluestein_single_fwd_len294_dim1_dp_op_CI_CI
		.amdhsa_group_segment_fixed_size 14112
		.amdhsa_private_segment_fixed_size 0
		.amdhsa_kernarg_size 104
		.amdhsa_user_sgpr_count 6
		.amdhsa_user_sgpr_private_segment_buffer 1
		.amdhsa_user_sgpr_dispatch_ptr 0
		.amdhsa_user_sgpr_queue_ptr 0
		.amdhsa_user_sgpr_kernarg_segment_ptr 1
		.amdhsa_user_sgpr_dispatch_id 0
		.amdhsa_user_sgpr_flat_scratch_init 0
		.amdhsa_user_sgpr_private_segment_size 0
		.amdhsa_wavefront_size32 1
		.amdhsa_uses_dynamic_stack 0
		.amdhsa_system_sgpr_private_segment_wavefront_offset 0
		.amdhsa_system_sgpr_workgroup_id_x 1
		.amdhsa_system_sgpr_workgroup_id_y 0
		.amdhsa_system_sgpr_workgroup_id_z 0
		.amdhsa_system_sgpr_workgroup_info 0
		.amdhsa_system_vgpr_workitem_id 0
		.amdhsa_next_free_vgpr 175
		.amdhsa_next_free_sgpr 28
		.amdhsa_reserve_vcc 1
		.amdhsa_reserve_flat_scratch 0
		.amdhsa_float_round_mode_32 0
		.amdhsa_float_round_mode_16_64 0
		.amdhsa_float_denorm_mode_32 3
		.amdhsa_float_denorm_mode_16_64 3
		.amdhsa_dx10_clamp 1
		.amdhsa_ieee_mode 1
		.amdhsa_fp16_overflow 0
		.amdhsa_workgroup_processor_mode 1
		.amdhsa_memory_ordered 1
		.amdhsa_forward_progress 0
		.amdhsa_shared_vgpr_count 0
		.amdhsa_exception_fp_ieee_invalid_op 0
		.amdhsa_exception_fp_denorm_src 0
		.amdhsa_exception_fp_ieee_div_zero 0
		.amdhsa_exception_fp_ieee_overflow 0
		.amdhsa_exception_fp_ieee_underflow 0
		.amdhsa_exception_fp_ieee_inexact 0
		.amdhsa_exception_int_div_zero 0
	.end_amdhsa_kernel
	.text
.Lfunc_end0:
	.size	bluestein_single_fwd_len294_dim1_dp_op_CI_CI, .Lfunc_end0-bluestein_single_fwd_len294_dim1_dp_op_CI_CI
                                        ; -- End function
	.section	.AMDGPU.csdata,"",@progbits
; Kernel info:
; codeLenInByte = 9924
; NumSgprs: 30
; NumVgprs: 175
; ScratchSize: 0
; MemoryBound: 0
; FloatMode: 240
; IeeeMode: 1
; LDSByteSize: 14112 bytes/workgroup (compile time only)
; SGPRBlocks: 3
; VGPRBlocks: 21
; NumSGPRsForWavesPerEU: 30
; NumVGPRsForWavesPerEU: 175
; Occupancy: 5
; WaveLimiterHint : 1
; COMPUTE_PGM_RSRC2:SCRATCH_EN: 0
; COMPUTE_PGM_RSRC2:USER_SGPR: 6
; COMPUTE_PGM_RSRC2:TRAP_HANDLER: 0
; COMPUTE_PGM_RSRC2:TGID_X_EN: 1
; COMPUTE_PGM_RSRC2:TGID_Y_EN: 0
; COMPUTE_PGM_RSRC2:TGID_Z_EN: 0
; COMPUTE_PGM_RSRC2:TIDIG_COMP_CNT: 0
	.text
	.p2alignl 6, 3214868480
	.fill 48, 4, 3214868480
	.type	__hip_cuid_959939d69334e342,@object ; @__hip_cuid_959939d69334e342
	.section	.bss,"aw",@nobits
	.globl	__hip_cuid_959939d69334e342
__hip_cuid_959939d69334e342:
	.byte	0                               ; 0x0
	.size	__hip_cuid_959939d69334e342, 1

	.ident	"AMD clang version 19.0.0git (https://github.com/RadeonOpenCompute/llvm-project roc-6.4.0 25133 c7fe45cf4b819c5991fe208aaa96edf142730f1d)"
	.section	".note.GNU-stack","",@progbits
	.addrsig
	.addrsig_sym __hip_cuid_959939d69334e342
	.amdgpu_metadata
---
amdhsa.kernels:
  - .args:
      - .actual_access:  read_only
        .address_space:  global
        .offset:         0
        .size:           8
        .value_kind:     global_buffer
      - .actual_access:  read_only
        .address_space:  global
        .offset:         8
        .size:           8
        .value_kind:     global_buffer
      - .actual_access:  read_only
        .address_space:  global
        .offset:         16
        .size:           8
        .value_kind:     global_buffer
      - .actual_access:  read_only
        .address_space:  global
        .offset:         24
        .size:           8
        .value_kind:     global_buffer
      - .actual_access:  read_only
        .address_space:  global
        .offset:         32
        .size:           8
        .value_kind:     global_buffer
      - .offset:         40
        .size:           8
        .value_kind:     by_value
      - .address_space:  global
        .offset:         48
        .size:           8
        .value_kind:     global_buffer
      - .address_space:  global
        .offset:         56
        .size:           8
        .value_kind:     global_buffer
      - .address_space:  global
        .offset:         64
        .size:           8
        .value_kind:     global_buffer
      - .address_space:  global
        .offset:         72
        .size:           8
        .value_kind:     global_buffer
      - .offset:         80
        .size:           4
        .value_kind:     by_value
      - .address_space:  global
        .offset:         88
        .size:           8
        .value_kind:     global_buffer
      - .address_space:  global
        .offset:         96
        .size:           8
        .value_kind:     global_buffer
    .group_segment_fixed_size: 14112
    .kernarg_segment_align: 8
    .kernarg_segment_size: 104
    .language:       OpenCL C
    .language_version:
      - 2
      - 0
    .max_flat_workgroup_size: 126
    .name:           bluestein_single_fwd_len294_dim1_dp_op_CI_CI
    .private_segment_fixed_size: 0
    .sgpr_count:     30
    .sgpr_spill_count: 0
    .symbol:         bluestein_single_fwd_len294_dim1_dp_op_CI_CI.kd
    .uniform_work_group_size: 1
    .uses_dynamic_stack: false
    .vgpr_count:     175
    .vgpr_spill_count: 0
    .wavefront_size: 32
    .workgroup_processor_mode: 1
amdhsa.target:   amdgcn-amd-amdhsa--gfx1030
amdhsa.version:
  - 1
  - 2
...

	.end_amdgpu_metadata
